;; amdgpu-corpus repo=ROCm/rocFFT kind=compiled arch=gfx1030 opt=O3
	.text
	.amdgcn_target "amdgcn-amd-amdhsa--gfx1030"
	.amdhsa_code_object_version 6
	.protected	bluestein_single_back_len2500_dim1_sp_op_CI_CI ; -- Begin function bluestein_single_back_len2500_dim1_sp_op_CI_CI
	.globl	bluestein_single_back_len2500_dim1_sp_op_CI_CI
	.p2align	8
	.type	bluestein_single_back_len2500_dim1_sp_op_CI_CI,@function
bluestein_single_back_len2500_dim1_sp_op_CI_CI: ; @bluestein_single_back_len2500_dim1_sp_op_CI_CI
; %bb.0:
	s_load_dwordx4 s[12:15], s[4:5], 0x28
	v_mul_u32_u24_e32 v1, 0x107, v0
	v_mov_b32_e32 v85, 0
	s_mov_b32 s0, exec_lo
	v_lshrrev_b32_e32 v1, 16, v1
	v_add_nc_u32_e32 v84, s6, v1
	s_waitcnt lgkmcnt(0)
	v_cmpx_gt_u64_e64 s[12:13], v[84:85]
	s_cbranch_execz .LBB0_2
; %bb.1:
	s_clause 0x1
	s_load_dwordx4 s[0:3], s[4:5], 0x18
	s_load_dwordx4 s[8:11], s[4:5], 0x0
	v_mul_lo_u16 v1, 0xfa, v1
	s_load_dwordx2 s[4:5], s[4:5], 0x38
	v_sub_nc_u16 v16, v0, v1
	v_and_b32_e32 v92, 0xffff, v16
	v_and_b32_e32 v28, 0xff, v16
	v_lshlrev_b32_e32 v89, 3, v92
	v_add_co_u32 v32, null, 0xfa, v92
	s_waitcnt lgkmcnt(0)
	s_load_dwordx4 s[16:19], s[0:1], 0x0
	s_clause 0x1
	global_load_dwordx2 v[66:67], v89, s[8:9]
	global_load_dwordx2 v[64:65], v89, s[8:9] offset:2000
	v_add_co_u32 v48, s0, s8, v89
	v_add_co_ci_u32_e64 v49, null, s9, 0, s0
	v_add_nc_u32_e32 v93, 0xf80, v89
	v_add_co_u32 v0, vcc_lo, 0x800, v48
	v_add_co_ci_u32_e32 v1, vcc_lo, 0, v49, vcc_lo
	v_add_co_u32 v2, vcc_lo, 0x1000, v48
	v_add_co_ci_u32_e32 v3, vcc_lo, 0, v49, vcc_lo
	v_add_co_u32 v4, vcc_lo, 0x1800, v48
	v_add_co_ci_u32_e32 v5, vcc_lo, 0, v49, vcc_lo
	s_waitcnt lgkmcnt(0)
	v_mad_u64_u32 v[8:9], null, s18, v84, 0
	v_mad_u64_u32 v[10:11], null, s16, v92, 0
	v_add_co_u32 v6, vcc_lo, 0x2000, v48
	v_add_co_ci_u32_e32 v7, vcc_lo, 0, v49, vcc_lo
	v_add_co_u32 v12, vcc_lo, 0x2800, v48
	v_mad_u64_u32 v[19:20], null, s19, v84, v[9:10]
	v_add_co_ci_u32_e32 v13, vcc_lo, 0, v49, vcc_lo
	v_mad_u64_u32 v[20:21], null, s17, v92, v[11:12]
	v_add_co_u32 v14, vcc_lo, 0x3000, v48
	v_mov_b32_e32 v9, v19
	v_add_co_ci_u32_e32 v15, vcc_lo, 0, v49, vcc_lo
	v_add_co_u32 v17, vcc_lo, 0x3800, v48
	global_load_dwordx2 v[68:69], v[0:1], off offset:1952
	v_mov_b32_e32 v11, v20
	v_lshlrev_b64 v[0:1], 3, v[8:9]
	v_add_co_ci_u32_e32 v18, vcc_lo, 0, v49, vcc_lo
	v_add_co_u32 v21, vcc_lo, 0x4000, v48
	v_add_co_ci_u32_e32 v22, vcc_lo, 0, v49, vcc_lo
	s_clause 0x2
	global_load_dwordx2 v[74:75], v[2:3], off offset:1904
	global_load_dwordx2 v[72:73], v[4:5], off offset:1856
	;; [unrolled: 1-line block ×3, first 2 shown]
	v_lshlrev_b64 v[2:3], 3, v[10:11]
	v_add_co_u32 v0, vcc_lo, s14, v0
	v_add_co_ci_u32_e32 v1, vcc_lo, s15, v1, vcc_lo
	s_mul_i32 s0, s17, 0x7d0
	v_add_co_u32 v0, vcc_lo, v0, v2
	v_add_co_ci_u32_e32 v1, vcc_lo, v1, v3, vcc_lo
	s_mul_hi_u32 s1, s16, 0x7d0
	s_mul_i32 s6, s16, 0x7d0
	s_add_i32 s1, s1, s0
	v_add_co_u32 v2, vcc_lo, v0, s6
	v_add_co_ci_u32_e32 v3, vcc_lo, s1, v1, vcc_lo
	global_load_dwordx2 v[0:1], v[0:1], off
	v_add_co_u32 v4, vcc_lo, v2, s6
	v_add_co_ci_u32_e32 v5, vcc_lo, s1, v3, vcc_lo
	s_clause 0x1
	global_load_dwordx2 v[76:77], v[12:13], off offset:1760
	global_load_dwordx2 v[78:79], v[14:15], off offset:1712
	v_add_co_u32 v6, vcc_lo, v4, s6
	v_add_co_ci_u32_e32 v7, vcc_lo, s1, v5, vcc_lo
	s_clause 0x1
	global_load_dwordx2 v[2:3], v[2:3], off
	global_load_dwordx2 v[4:5], v[4:5], off
	v_add_co_u32 v8, vcc_lo, v6, s6
	v_add_co_ci_u32_e32 v9, vcc_lo, s1, v7, vcc_lo
	global_load_dwordx2 v[6:7], v[6:7], off
	v_add_co_u32 v10, vcc_lo, v8, s6
	v_add_co_ci_u32_e32 v11, vcc_lo, s1, v9, vcc_lo
	;; [unrolled: 3-line block ×6, first 2 shown]
	global_load_dwordx2 v[80:81], v[17:18], off offset:1664
	global_load_dwordx2 v[18:19], v[19:20], off
	global_load_dwordx2 v[82:83], v[21:22], off offset:1616
	global_load_dwordx2 v[22:23], v[23:24], off
	v_add_nc_u32_e32 v94, 0x1f40, v89
	v_add_nc_u32_e32 v91, 0x2ec0, v89
	v_mov_b32_e32 v17, 0xcccd
	v_add_nc_u32_e32 v90, 0x3e80, v89
	s_load_dwordx4 s[0:3], s[2:3], 0x0
	v_mul_lo_u16 v20, 0xcd, v28
	v_mul_u32_u24_sdwa v17, v32, v17 dst_sel:DWORD dst_unused:UNUSED_PAD src0_sel:WORD_0 src1_sel:DWORD
	v_lshrrev_b16 v21, 11, v20
	v_lshrrev_b32_e32 v17, 19, v17
	v_mul_lo_u16 v20, v21, 10
	v_mul_lo_u16 v29, v17, 10
	v_sub_nc_u16 v20, v16, v20
	v_and_b32_e32 v20, 0xff, v20
	s_waitcnt vmcnt(13)
	v_mul_f32_e32 v24, v1, v67
	v_mul_f32_e32 v25, v0, v67
	v_fmac_f32_e32 v24, v0, v66
	v_fma_f32 v25, v1, v66, -v25
	s_waitcnt vmcnt(10)
	v_mul_f32_e32 v26, v3, v65
	v_mul_f32_e32 v27, v2, v65
	s_waitcnt vmcnt(9)
	v_mul_f32_e32 v0, v5, v69
	v_mul_f32_e32 v1, v4, v69
	v_fmac_f32_e32 v26, v2, v64
	s_waitcnt vmcnt(8)
	v_mul_f32_e32 v2, v7, v75
	v_fma_f32 v27, v3, v64, -v27
	v_mul_f32_e32 v3, v6, v75
	v_fmac_f32_e32 v0, v4, v68
	v_fma_f32 v1, v5, v68, -v1
	s_waitcnt vmcnt(7)
	v_mul_f32_e32 v4, v9, v73
	v_mul_f32_e32 v5, v8, v73
	v_fmac_f32_e32 v2, v6, v74
	v_fma_f32 v3, v7, v74, -v3
	s_waitcnt vmcnt(6)
	v_mul_f32_e32 v6, v11, v71
	;; [unrolled: 5-line block ×5, first 2 shown]
	v_fmac_f32_e32 v10, v14, v78
	v_mul_f32_e32 v13, v18, v81
	s_waitcnt vmcnt(0)
	v_mul_f32_e32 v14, v23, v83
	v_mul_f32_e32 v30, v22, v83
	v_fma_f32 v11, v15, v78, -v11
	v_fmac_f32_e32 v12, v18, v80
	v_fma_f32 v13, v19, v80, -v13
	v_fmac_f32_e32 v14, v22, v82
	v_fma_f32 v15, v23, v82, -v30
	ds_write2_b64 v89, v[24:25], v[26:27] offset1:250
	ds_write2_b64 v93, v[0:1], v[2:3] offset0:4 offset1:254
	ds_write2_b64 v94, v[4:5], v[6:7] offset1:250
	ds_write2_b64 v91, v[8:9], v[10:11] offset0:4 offset1:254
	ds_write2_b64 v90, v[12:13], v[14:15] offset1:250
	s_waitcnt lgkmcnt(0)
	s_barrier
	buffer_gl0_inv
	ds_read2_b64 v[0:3], v89 offset1:250
	ds_read2_b64 v[4:7], v93 offset0:4 offset1:254
	ds_read2_b64 v[8:11], v94 offset1:250
	ds_read2_b64 v[12:15], v91 offset0:4 offset1:254
	ds_read2_b64 v[22:25], v90 offset1:250
	v_sub_nc_u16 v19, v32, v29
	v_mov_b32_e32 v18, 3
	v_mul_lo_u16 v26, v16, 10
	s_waitcnt lgkmcnt(0)
	s_barrier
	v_lshlrev_b16 v27, 2, v19
	buffer_gl0_inv
	v_lshlrev_b32_sdwa v52, v18, v26 dst_sel:DWORD dst_unused:UNUSED_PAD src0_sel:DWORD src1_sel:WORD_0
	v_lshlrev_b32_e32 v26, 5, v20
	v_lshlrev_b32_e32 v32, 5, v32
	v_lshlrev_b32_sdwa v27, v18, v27 dst_sel:DWORD dst_unused:UNUSED_PAD src0_sel:DWORD src1_sel:WORD_0
	v_add_f32_e32 v29, v0, v4
	v_add_f32_e32 v44, v2, v6
	;; [unrolled: 1-line block ×3, first 2 shown]
	v_sub_f32_e32 v34, v4, v8
	v_sub_f32_e32 v35, v22, v12
	v_add_f32_e32 v39, v1, v5
	v_sub_f32_e32 v42, v5, v9
	v_add_f32_e32 v51, v3, v7
	v_add_f32_e32 v53, v11, v15
	v_sub_f32_e32 v55, v7, v11
	v_sub_f32_e32 v56, v11, v7
	;; [unrolled: 1-line block ×3, first 2 shown]
	v_add_f32_e32 v58, v6, v24
	v_add_f32_e32 v7, v7, v25
	v_sub_f32_e32 v59, v23, v13
	v_add_f32_e32 v30, v8, v12
	v_add_f32_e32 v36, v4, v22
	v_sub_f32_e32 v37, v8, v4
	v_sub_f32_e32 v41, v8, v12
	;; [unrolled: 1-line block ×5, first 2 shown]
	v_add_f32_e32 v8, v29, v8
	v_add_f32_e32 v10, v44, v10
	v_fma_f32 v44, -0.5, v45, v2
	v_sub_f32_e32 v31, v5, v23
	v_sub_f32_e32 v33, v9, v13
	;; [unrolled: 1-line block ×3, first 2 shown]
	v_add_f32_e32 v40, v9, v13
	v_add_f32_e32 v43, v5, v23
	v_sub_f32_e32 v5, v9, v5
	v_sub_f32_e32 v46, v11, v15
	;; [unrolled: 1-line block ×3, first 2 shown]
	v_add_f32_e32 v9, v39, v9
	v_add_f32_e32 v11, v51, v11
	;; [unrolled: 1-line block ×4, first 2 shown]
	v_fma_f32 v42, -0.5, v53, v3
	v_fmac_f32_e32 v3, -0.5, v7
	v_fma_f32 v2, -0.5, v58, v2
	v_sub_f32_e32 v6, v6, v24
	v_fma_f32 v30, -0.5, v30, v0
	v_fma_f32 v36, -0.5, v36, v0
	v_add_f32_e32 v0, v8, v12
	v_add_f32_e32 v8, v10, v14
	v_fmamk_f32 v10, v57, 0x3f737871, v44
	v_sub_f32_e32 v62, v14, v24
	v_sub_f32_e32 v85, v15, v25
	v_add_f32_e32 v34, v37, v38
	v_add_f32_e32 v37, v47, v61
	v_fma_f32 v40, -0.5, v40, v1
	v_fma_f32 v43, -0.5, v43, v1
	v_add_f32_e32 v1, v9, v13
	v_add_f32_e32 v9, v11, v15
	v_fmamk_f32 v11, v46, 0xbf737871, v2
	v_fmac_f32_e32 v2, 0x3f737871, v46
	v_fmamk_f32 v47, v54, 0x3f737871, v3
	v_fmac_f32_e32 v3, 0xbf737871, v54
	v_sub_f32_e32 v63, v25, v15
	v_fmac_f32_e32 v44, 0xbf737871, v57
	v_fmamk_f32 v14, v6, 0xbf737871, v42
	v_fmac_f32_e32 v42, 0x3f737871, v6
	v_sub_f32_e32 v4, v4, v22
	v_fmamk_f32 v12, v31, 0x3f737871, v30
	v_fmac_f32_e32 v30, 0xbf737871, v31
	v_fmac_f32_e32 v10, 0x3f167918, v46
	v_add_f32_e32 v38, v50, v62
	v_add_f32_e32 v7, v56, v85
	v_fmac_f32_e32 v11, 0x3f167918, v57
	v_fmac_f32_e32 v2, 0xbf167918, v57
	;; [unrolled: 1-line block ×4, first 2 shown]
	v_sub_f32_e32 v60, v13, v23
	v_add_f32_e32 v39, v55, v63
	v_fmamk_f32 v13, v33, 0xbf737871, v36
	v_fmac_f32_e32 v36, 0x3f737871, v33
	v_fmac_f32_e32 v44, 0xbf167918, v46
	;; [unrolled: 1-line block ×3, first 2 shown]
	v_fmamk_f32 v15, v4, 0xbf737871, v40
	v_add_f32_e32 v22, v0, v22
	v_add_f32_e32 v8, v8, v24
	v_fmac_f32_e32 v12, 0x3f167918, v33
	v_fmac_f32_e32 v30, 0xbf167918, v33
	;; [unrolled: 1-line block ×4, first 2 shown]
	v_fmamk_f32 v45, v41, 0x3f737871, v43
	v_fmac_f32_e32 v43, 0xbf737871, v41
	v_add_f32_e32 v23, v1, v23
	v_add_f32_e32 v9, v9, v25
	v_fmac_f32_e32 v11, 0x3e9e377a, v38
	v_fmac_f32_e32 v2, 0x3e9e377a, v38
	;; [unrolled: 1-line block ×13, first 2 shown]
	v_add_f32_e32 v0, v22, v8
	v_sub_f32_e32 v6, v22, v8
	v_mul_f32_e32 v22, 0x3f4f1bbd, v10
	v_mul_f32_e32 v29, 0xbf167918, v10
	v_add_f32_e32 v5, v5, v60
	v_fmac_f32_e32 v45, 0xbf167918, v4
	v_fmac_f32_e32 v43, 0x3f167918, v4
	v_add_f32_e32 v1, v23, v9
	v_sub_f32_e32 v7, v23, v9
	v_mul_f32_e32 v23, 0x3f737871, v47
	v_mul_f32_e32 v24, 0xbe9e377a, v2
	;; [unrolled: 1-line block ×4, first 2 shown]
	v_fmac_f32_e32 v40, 0x3f167918, v41
	v_fmac_f32_e32 v13, 0x3e9e377a, v34
	;; [unrolled: 1-line block ×3, first 2 shown]
	v_mul_f32_e32 v25, 0xbf4f1bbd, v44
	v_mul_f32_e32 v34, 0xbf4f1bbd, v42
	v_fmac_f32_e32 v15, 0x3e9e377a, v35
	v_fmac_f32_e32 v22, 0x3f167918, v14
	;; [unrolled: 1-line block ×12, first 2 shown]
	v_add_f32_e32 v2, v12, v22
	v_add_f32_e32 v3, v15, v29
	;; [unrolled: 1-line block ×8, first 2 shown]
	v_sub_f32_e32 v12, v12, v22
	v_sub_f32_e32 v14, v13, v23
	;; [unrolled: 1-line block ×8, first 2 shown]
	ds_write_b128 v52, v[0:3]
	ds_write_b128 v52, v[8:11] offset:16
	ds_write_b128 v52, v[4:7] offset:32
	;; [unrolled: 1-line block ×4, first 2 shown]
	s_waitcnt lgkmcnt(0)
	s_barrier
	buffer_gl0_inv
	s_clause 0x3
	global_load_dwordx4 v[12:15], v26, s[10:11]
	global_load_dwordx4 v[8:11], v27, s[10:11]
	global_load_dwordx4 v[4:7], v26, s[10:11] offset:16
	global_load_dwordx4 v[0:3], v27, s[10:11] offset:16
	v_mul_lo_u16 v22, v28, 41
	ds_read2_b64 v[35:38], v91 offset0:4 offset1:254
	ds_read2_b64 v[39:42], v90 offset1:250
	v_mov_b32_e32 v30, 50
	v_lshrrev_b16 v33, 11, v22
	ds_read2_b64 v[22:25], v93 offset0:4 offset1:254
	v_mul_u32_u24_sdwa v21, v21, v30 dst_sel:DWORD dst_unused:UNUSED_PAD src0_sel:WORD_0 src1_sel:DWORD
	v_mul_lo_u16 v26, v33, 50
	v_add_lshl_u32 v95, v21, v20, 3
	v_sub_nc_u16 v16, v16, v26
	ds_read2_b64 v[26:29], v94 offset1:250
	v_and_b32_e32 v34, 0xff, v16
	v_mad_u16 v16, v17, 50, v19
	v_mad_u64_u32 v[43:44], null, 0x48, v34, s[10:11]
	v_lshlrev_b32_sdwa v96, v18, v16 dst_sel:DWORD dst_unused:UNUSED_PAD src0_sel:DWORD src1_sel:WORD_0
	ds_read2_b64 v[16:19], v89 offset1:250
	s_waitcnt vmcnt(0) lgkmcnt(0)
	s_barrier
	buffer_gl0_inv
	v_mul_f32_e32 v20, v23, v13
	v_mul_f32_e32 v21, v22, v13
	;; [unrolled: 1-line block ×16, first 2 shown]
	v_fma_f32 v20, v22, v12, -v20
	v_fmac_f32_e32 v21, v23, v12
	v_fma_f32 v22, v24, v8, -v30
	v_fmac_f32_e32 v31, v25, v8
	;; [unrolled: 2-line block ×8, first 2 shown]
	v_add_f32_e32 v27, v16, v20
	v_add_f32_e32 v28, v17, v21
	;; [unrolled: 1-line block ×3, first 2 shown]
	v_sub_f32_e32 v30, v20, v23
	v_sub_f32_e32 v36, v23, v20
	v_add_f32_e32 v41, v20, v35
	v_sub_f32_e32 v42, v20, v35
	v_add_f32_e32 v47, v46, v53
	v_sub_f32_e32 v51, v21, v46
	v_sub_f32_e32 v54, v46, v21
	;; [unrolled: 1-line block ×3, first 2 shown]
	v_add_f32_e32 v58, v21, v57
	v_add_f32_e32 v20, v18, v22
	;; [unrolled: 1-line block ×6, first 2 shown]
	v_sub_f32_e32 v101, v31, v50
	v_sub_f32_e32 v102, v50, v31
	;; [unrolled: 1-line block ×3, first 2 shown]
	v_add_f32_e32 v31, v31, v59
	v_sub_f32_e32 v38, v35, v25
	v_sub_f32_e32 v40, v25, v35
	v_sub_f32_e32 v45, v46, v53
	v_sub_f32_e32 v63, v22, v24
	v_sub_f32_e32 v85, v24, v22
	v_sub_f32_e32 v86, v24, v26
	v_add_f32_e32 v27, v27, v23
	v_add_f32_e32 v28, v28, v46
	;; [unrolled: 1-line block ×4, first 2 shown]
	v_fma_f32 v20, -0.5, v29, v16
	v_fma_f32 v21, -0.5, v47, v17
	v_sub_f32_e32 v39, v23, v25
	v_fma_f32 v16, -0.5, v41, v16
	v_fma_f32 v17, -0.5, v58, v17
	v_sub_f32_e32 v98, v22, v37
	;; [unrolled: 3-line block ×3, first 2 shown]
	v_fma_f32 v18, -0.5, v97, v18
	v_fmac_f32_e32 v19, -0.5, v31
	v_sub_f32_e32 v60, v57, v53
	v_sub_f32_e32 v61, v53, v57
	v_add_f32_e32 v50, v30, v38
	v_add_f32_e32 v40, v36, v40
	;; [unrolled: 1-line block ×5, first 2 shown]
	v_fmamk_f32 v24, v56, 0x3f737871, v20
	v_fmamk_f32 v25, v42, 0xbf737871, v21
	v_sub_f32_e32 v87, v37, v26
	v_sub_f32_e32 v88, v26, v37
	v_fmamk_f32 v26, v45, 0xbf737871, v16
	v_fmac_f32_e32 v16, 0x3f737871, v45
	v_fmamk_f32 v27, v39, 0x3f737871, v17
	v_fmac_f32_e32 v17, 0xbf737871, v39
	v_fmac_f32_e32 v20, 0xbf737871, v56
	;; [unrolled: 1-line block ×3, first 2 shown]
	v_sub_f32_e32 v104, v59, v55
	v_fmamk_f32 v28, v103, 0x3f737871, v22
	v_fmamk_f32 v29, v98, 0xbf737871, v23
	v_sub_f32_e32 v105, v55, v59
	v_fmac_f32_e32 v22, 0xbf737871, v103
	v_fmamk_f32 v30, v99, 0xbf737871, v18
	v_fmac_f32_e32 v18, 0x3f737871, v99
	v_fmac_f32_e32 v23, 0x3f737871, v98
	v_fmamk_f32 v31, v86, 0x3f737871, v19
	v_fmac_f32_e32 v19, 0xbf737871, v86
	v_add_f32_e32 v47, v51, v60
	v_fmac_f32_e32 v24, 0x3f167918, v45
	v_fmac_f32_e32 v25, 0xbf167918, v39
	v_add_f32_e32 v41, v54, v61
	v_fmac_f32_e32 v26, 0x3f167918, v56
	v_fmac_f32_e32 v16, 0xbf167918, v56
	;; [unrolled: 1-line block ×6, first 2 shown]
	v_add_f32_e32 v51, v63, v87
	v_add_f32_e32 v58, v101, v104
	;; [unrolled: 1-line block ×3, first 2 shown]
	v_fmac_f32_e32 v28, 0x3f167918, v99
	v_fmac_f32_e32 v29, 0xbf167918, v86
	v_add_f32_e32 v54, v85, v88
	v_add_f32_e32 v60, v102, v105
	v_fmac_f32_e32 v22, 0xbf167918, v99
	v_fmac_f32_e32 v30, 0x3f167918, v103
	;; [unrolled: 1-line block ×6, first 2 shown]
	v_add_f32_e32 v35, v36, v35
	v_add_f32_e32 v36, v38, v57
	v_fmac_f32_e32 v24, 0x3e9e377a, v50
	v_fmac_f32_e32 v25, 0x3e9e377a, v47
	;; [unrolled: 1-line block ×8, first 2 shown]
	v_add_f32_e32 v37, v53, v37
	v_add_f32_e32 v38, v46, v59
	v_fmac_f32_e32 v28, 0x3e9e377a, v51
	v_fmac_f32_e32 v29, 0x3e9e377a, v58
	;; [unrolled: 1-line block ×8, first 2 shown]
	ds_write2_b64 v95, v[35:36], v[24:25] offset1:10
	ds_write2_b64 v95, v[26:27], v[16:17] offset0:20 offset1:30
	ds_write_b64 v95, v[20:21] offset:320
	ds_write2_b64 v96, v[37:38], v[28:29] offset1:10
	ds_write2_b64 v96, v[30:31], v[18:19] offset0:20 offset1:30
	ds_write_b64 v96, v[22:23] offset:320
	s_waitcnt lgkmcnt(0)
	s_barrier
	buffer_gl0_inv
	s_clause 0x4
	global_load_dwordx4 v[24:27], v[43:44], off offset:320
	global_load_dwordx4 v[20:23], v[43:44], off offset:336
	;; [unrolled: 1-line block ×4, first 2 shown]
	global_load_dwordx2 v[85:86], v[43:44], off offset:384
	v_lshlrev_b32_e32 v35, 5, v92
	v_mov_b32_e32 v36, 0x1f4
	ds_read2_b64 v[39:42], v94 offset1:250
	ds_read2_b64 v[53:56], v90 offset1:250
	ds_read2_b64 v[57:60], v89 offset1:250
	v_add_co_u32 v43, s6, s10, v35
	v_add_co_ci_u32_e64 v44, null, s11, 0, s6
	v_add_co_u32 v63, s6, s10, v32
	v_add_co_u32 v32, vcc_lo, 0x800, v43
	v_mul_u32_u24_sdwa v47, v33, v36 dst_sel:DWORD dst_unused:UNUSED_PAD src0_sel:WORD_0 src1_sel:DWORD
	v_add_co_ci_u32_e32 v33, vcc_lo, 0, v44, vcc_lo
	v_add_co_u32 v50, vcc_lo, 0xf50, v43
	ds_read2_b64 v[35:38], v93 offset0:4 offset1:254
	v_add_co_ci_u32_e32 v51, vcc_lo, 0, v44, vcc_lo
	ds_read2_b64 v[43:46], v91 offset0:4 offset1:254
	v_add_lshl_u32 v97, v47, v34, 3
	v_add_co_ci_u32_e64 v87, null, s11, 0, s6
	v_add_co_u32 v61, vcc_lo, 0x800, v63
	v_add_nc_u32_e32 v98, 0x800, v97
	v_add_co_ci_u32_e32 v62, vcc_lo, 0, v87, vcc_lo
	s_waitcnt vmcnt(0) lgkmcnt(0)
	s_barrier
	buffer_gl0_inv
	s_mul_hi_u32 s6, s0, 0x7d0
	v_mul_f32_e32 v47, v35, v27
	v_mul_f32_e32 v99, v37, v21
	;; [unrolled: 1-line block ×17, first 2 shown]
	v_fmac_f32_e32 v47, v36, v26
	v_fmac_f32_e32 v99, v38, v20
	v_fma_f32 v36, v39, v22, -v100
	v_fma_f32 v38, v43, v18, -v104
	v_mul_f32_e32 v110, v56, v86
	v_fma_f32 v34, v35, v26, -v34
	v_fma_f32 v35, v37, v20, -v88
	v_fmac_f32_e32 v101, v40, v22
	v_fma_f32 v37, v41, v16, -v102
	v_fmac_f32_e32 v103, v42, v16
	v_fmac_f32_e32 v105, v44, v18
	v_fma_f32 v39, v45, v28, -v106
	v_fmac_f32_e32 v107, v46, v28
	v_fma_f32 v40, v53, v30, -v108
	v_fmac_f32_e32 v109, v54, v30
	v_fmac_f32_e32 v111, v56, v85
	v_fma_f32 v42, v59, v24, -v112
	v_fmac_f32_e32 v113, v60, v24
	v_add_f32_e32 v43, v36, v38
	v_fma_f32 v41, v55, v85, -v110
	v_add_f32_e32 v44, v34, v40
	v_sub_f32_e32 v59, v47, v101
	v_sub_f32_e32 v60, v109, v105
	;; [unrolled: 1-line block ×8, first 2 shown]
	v_add_f32_e32 v114, v37, v39
	v_add_f32_e32 v116, v42, v35
	v_add_f32_e32 v119, v103, v107
	v_fma_f32 v121, -0.5, v43, v57
	v_add_f32_e32 v43, v113, v99
	v_add_f32_e32 v45, v101, v105
	v_add_f32_e32 v46, v47, v109
	v_add_f32_e32 v53, v57, v34
	v_add_f32_e32 v54, v58, v47
	v_sub_f32_e32 v88, v35, v37
	v_sub_f32_e32 v100, v41, v39
	v_add_f32_e32 v115, v35, v41
	v_add_f32_e32 v120, v99, v111
	v_sub_f32_e32 v117, v37, v35
	v_fma_f32 v57, -0.5, v44, v57
	v_sub_f32_e32 v44, v103, v99
	v_add_f32_e32 v59, v59, v60
	v_sub_f32_e32 v60, v37, v39
	v_sub_f32_e32 v35, v35, v41
	v_sub_f32_e32 v99, v99, v111
	v_add_f32_e32 v102, v102, v104
	v_add_f32_e32 v104, v106, v108
	;; [unrolled: 1-line block ×3, first 2 shown]
	v_fma_f32 v108, -0.5, v114, v42
	v_fma_f32 v112, -0.5, v119, v113
	v_add_f32_e32 v37, v116, v37
	v_add_f32_e32 v43, v43, v103
	v_sub_f32_e32 v55, v34, v36
	v_sub_f32_e32 v56, v40, v38
	v_fma_f32 v122, -0.5, v45, v58
	v_fma_f32 v58, -0.5, v46, v58
	v_sub_f32_e32 v46, v36, v38
	v_add_f32_e32 v88, v88, v100
	v_sub_f32_e32 v100, v103, v107
	v_fmac_f32_e32 v42, -0.5, v115
	v_fmac_f32_e32 v113, -0.5, v120
	v_add_f32_e32 v36, v53, v36
	v_add_f32_e32 v53, v54, v101
	v_sub_f32_e32 v118, v39, v41
	v_sub_f32_e32 v45, v107, v111
	v_add_f32_e32 v37, v37, v39
	v_add_f32_e32 v39, v43, v107
	v_fmamk_f32 v103, v99, 0x3f737871, v108
	v_fmamk_f32 v107, v35, 0xbf737871, v112
	v_add_f32_e32 v55, v55, v56
	v_sub_f32_e32 v56, v101, v105
	v_sub_f32_e32 v47, v47, v109
	;; [unrolled: 1-line block ×3, first 2 shown]
	v_add_f32_e32 v36, v36, v38
	v_add_f32_e32 v38, v53, v105
	v_fmamk_f32 v101, v100, 0xbf737871, v42
	v_fmac_f32_e32 v42, 0x3f737871, v100
	v_fmamk_f32 v105, v60, 0x3f737871, v113
	v_fmac_f32_e32 v113, 0xbf737871, v60
	v_fmac_f32_e32 v108, 0xbf737871, v99
	;; [unrolled: 1-line block ×5, first 2 shown]
	v_add_f32_e32 v110, v117, v118
	v_add_f32_e32 v44, v44, v45
	v_fmamk_f32 v43, v47, 0x3f737871, v121
	v_fmamk_f32 v45, v34, 0xbf737871, v122
	v_fmac_f32_e32 v121, 0xbf737871, v47
	v_fmac_f32_e32 v122, 0x3f737871, v34
	;; [unrolled: 1-line block ×10, first 2 shown]
	v_fmamk_f32 v53, v56, 0xbf737871, v57
	v_fmac_f32_e32 v57, 0x3f737871, v56
	v_fmamk_f32 v54, v46, 0x3f737871, v58
	v_fmac_f32_e32 v58, 0xbf737871, v46
	v_fmac_f32_e32 v43, 0x3f167918, v56
	;; [unrolled: 1-line block ×11, first 2 shown]
	v_mul_f32_e32 v44, 0x3f167918, v107
	v_mul_f32_e32 v46, 0xbf167918, v103
	v_fmac_f32_e32 v53, 0x3f167918, v47
	v_fmac_f32_e32 v57, 0xbf167918, v47
	;; [unrolled: 1-line block ×8, first 2 shown]
	v_mul_f32_e32 v47, 0x3f737871, v105
	v_mul_f32_e32 v55, 0xbf737871, v101
	;; [unrolled: 1-line block ×6, first 2 shown]
	v_add_f32_e32 v36, v36, v40
	v_add_f32_e32 v38, v38, v109
	;; [unrolled: 1-line block ×4, first 2 shown]
	v_fmac_f32_e32 v44, 0x3f4f1bbd, v103
	v_fmac_f32_e32 v46, 0x3f4f1bbd, v107
	;; [unrolled: 1-line block ×12, first 2 shown]
	v_add_f32_e32 v34, v36, v37
	v_add_f32_e32 v35, v38, v39
	v_sub_f32_e32 v36, v36, v37
	v_sub_f32_e32 v37, v38, v39
	v_add_f32_e32 v38, v43, v44
	v_add_f32_e32 v39, v45, v46
	;; [unrolled: 1-line block ×4, first 2 shown]
	v_sub_f32_e32 v42, v43, v44
	v_sub_f32_e32 v43, v45, v46
	v_add_f32_e32 v44, v57, v56
	v_add_f32_e32 v45, v58, v59
	v_sub_f32_e32 v46, v53, v47
	v_sub_f32_e32 v47, v54, v55
	v_add_f32_e32 v53, v121, v60
	v_add_f32_e32 v54, v122, v88
	v_sub_f32_e32 v55, v57, v56
	v_sub_f32_e32 v56, v58, v59
	;; [unrolled: 1-line block ×4, first 2 shown]
	ds_write2_b64 v97, v[34:35], v[38:39] offset1:50
	ds_write2_b64 v97, v[40:41], v[44:45] offset0:100 offset1:150
	ds_write2_b64 v97, v[53:54], v[36:37] offset0:200 offset1:250
	;; [unrolled: 1-line block ×4, first 2 shown]
	v_add_co_u32 v36, vcc_lo, 0xf50, v63
	v_add_co_ci_u32_e32 v37, vcc_lo, 0, v87, vcc_lo
	s_waitcnt lgkmcnt(0)
	s_barrier
	buffer_gl0_inv
	s_clause 0x3
	global_load_dwordx4 v[40:43], v[32:33], off offset:1872
	global_load_dwordx4 v[32:35], v[61:62], off offset:1872
	;; [unrolled: 1-line block ×4, first 2 shown]
	ds_read2_b64 v[53:56], v93 offset0:4 offset1:254
	ds_read2_b64 v[57:60], v94 offset1:250
	ds_read2_b64 v[99:102], v91 offset0:4 offset1:254
	ds_read2_b64 v[103:106], v90 offset1:250
	ds_read2_b64 v[107:110], v89 offset1:250
	s_waitcnt vmcnt(3) lgkmcnt(4)
	v_mul_f32_e32 v50, v54, v41
	v_mul_f32_e32 v61, v53, v41
	s_waitcnt lgkmcnt(3)
	v_mul_f32_e32 v62, v58, v43
	v_mul_f32_e32 v87, v57, v43
	s_waitcnt vmcnt(1) lgkmcnt(2)
	v_mul_f32_e32 v112, v100, v45
	v_mul_f32_e32 v113, v99, v45
	s_waitcnt lgkmcnt(1)
	v_mul_f32_e32 v116, v104, v47
	v_mul_f32_e32 v117, v103, v47
	;; [unrolled: 1-line block ×6, first 2 shown]
	s_waitcnt vmcnt(0)
	v_mul_f32_e32 v114, v102, v37
	v_mul_f32_e32 v115, v101, v37
	;; [unrolled: 1-line block ×4, first 2 shown]
	v_fma_f32 v120, v53, v40, -v50
	v_fmac_f32_e32 v61, v54, v40
	v_fma_f32 v57, v57, v42, -v62
	v_fmac_f32_e32 v87, v58, v42
	;; [unrolled: 2-line block ×8, first 2 shown]
	v_sub_f32_e32 v50, v120, v57
	v_sub_f32_e32 v51, v62, v58
	v_add_f32_e32 v53, v57, v58
	v_sub_f32_e32 v55, v61, v87
	v_sub_f32_e32 v56, v117, v113
	;; [unrolled: 1-line block ×3, first 2 shown]
	v_add_f32_e32 v100, v120, v62
	v_sub_f32_e32 v101, v58, v62
	v_sub_f32_e32 v103, v87, v61
	;; [unrolled: 1-line block ×3, first 2 shown]
	v_add_f32_e32 v114, v59, v60
	v_add_f32_e32 v116, v121, v102
	;; [unrolled: 1-line block ×3, first 2 shown]
	s_waitcnt lgkmcnt(0)
	v_fma_f32 v50, -0.5, v53, v107
	v_add_f32_e32 v125, v55, v56
	v_fma_f32 v53, -0.5, v100, v107
	v_add_f32_e32 v56, v111, v115
	v_add_f32_e32 v126, v99, v101
	v_sub_f32_e32 v99, v111, v63
	v_add_f32_e32 v100, v63, v119
	v_sub_f32_e32 v101, v115, v119
	v_add_f32_e32 v88, v107, v120
	v_add_f32_e32 v54, v87, v113
	;; [unrolled: 1-line block ×5, first 2 shown]
	v_sub_f32_e32 v118, v59, v121
	v_sub_f32_e32 v122, v121, v59
	;; [unrolled: 1-line block ×3, first 2 shown]
	v_add_f32_e32 v127, v103, v105
	v_fma_f32 v55, -0.5, v114, v109
	v_fma_f32 v109, -0.5, v116, v109
	;; [unrolled: 1-line block ×3, first 2 shown]
	v_sub_f32_e32 v103, v102, v60
	v_fmac_f32_e32 v110, -0.5, v100
	v_sub_f32_e32 v100, v63, v111
	v_add_f32_e32 v116, v99, v101
	v_sub_f32_e32 v99, v119, v115
	v_add_f32_e32 v101, v108, v61
	v_add_f32_e32 v88, v88, v57
	v_fma_f32 v51, -0.5, v54, v108
	v_fma_f32 v54, -0.5, v104, v108
	v_add_f32_e32 v114, v118, v124
	v_sub_f32_e32 v107, v57, v58
	v_add_f32_e32 v118, v122, v103
	v_add_f32_e32 v122, v100, v99
	v_sub_f32_e32 v99, v61, v117
	v_add_f32_e32 v61, v101, v87
	v_sub_f32_e32 v101, v87, v113
	v_add_f32_e32 v87, v106, v59
	v_add_f32_e32 v88, v88, v58
	v_sub_f32_e32 v103, v120, v62
	v_sub_f32_e32 v120, v59, v60
	v_add_f32_e32 v100, v112, v111
	v_add_f32_e32 v105, v87, v60
	v_fmamk_f32 v59, v101, 0xbf737871, v53
	v_fmac_f32_e32 v53, 0x3f737871, v101
	v_sub_f32_e32 v112, v121, v102
	v_sub_f32_e32 v63, v63, v119
	v_fmamk_f32 v60, v107, 0x3f737871, v54
	v_fmac_f32_e32 v54, 0xbf737871, v107
	v_sub_f32_e32 v111, v111, v115
	v_add_f32_e32 v104, v61, v113
	v_add_f32_e32 v61, v88, v62
	v_fmamk_f32 v87, v99, 0x3f737871, v50
	v_fmac_f32_e32 v50, 0xbf737871, v99
	v_fmamk_f32 v88, v103, 0xbf737871, v51
	v_add_co_u32 v57, vcc_lo, 0x4800, v48
	v_fmac_f32_e32 v51, 0x3f737871, v103
	v_add_co_ci_u32_e32 v58, vcc_lo, 0, v49, vcc_lo
	v_fmac_f32_e32 v59, 0x3f167918, v99
	v_fmac_f32_e32 v53, 0xbf167918, v99
	v_add_co_u32 v99, vcc_lo, 0x4e20, v48
	v_fmac_f32_e32 v60, 0xbf167918, v103
	v_fmac_f32_e32 v54, 0x3f167918, v103
	v_add_f32_e32 v103, v105, v102
	v_fmamk_f32 v105, v63, 0x3f737871, v55
	v_fmac_f32_e32 v55, 0xbf737871, v63
	v_fmamk_f32 v106, v112, 0xbf737871, v56
	v_fmac_f32_e32 v56, 0x3f737871, v112
	v_fmac_f32_e32 v87, 0x3f167918, v101
	;; [unrolled: 1-line block ×3, first 2 shown]
	v_fmamk_f32 v101, v111, 0xbf737871, v109
	v_fmac_f32_e32 v109, 0x3f737871, v111
	v_fmamk_f32 v102, v120, 0x3f737871, v110
	v_fmac_f32_e32 v110, 0xbf737871, v120
	v_fmac_f32_e32 v88, 0xbf167918, v107
	v_add_f32_e32 v62, v104, v117
	v_add_f32_e32 v104, v100, v115
	v_add_co_ci_u32_e32 v100, vcc_lo, 0, v49, vcc_lo
	v_fmac_f32_e32 v51, 0x3f167918, v107
	v_add_co_u32 v107, vcc_lo, 0x5800, v48
	v_add_co_ci_u32_e32 v108, vcc_lo, 0, v49, vcc_lo
	v_fmac_f32_e32 v55, 0xbf167918, v111
	v_fmac_f32_e32 v56, 0x3f167918, v120
	v_fmac_f32_e32 v109, 0xbf167918, v63
	v_fmac_f32_e32 v101, 0x3f167918, v63
	v_fmac_f32_e32 v110, 0x3f167918, v112
	v_fmac_f32_e32 v102, 0xbf167918, v112
	v_fmac_f32_e32 v105, 0x3f167918, v111
	v_add_co_u32 v111, vcc_lo, 0x6000, v48
	v_fmac_f32_e32 v106, 0xbf167918, v120
	v_fmac_f32_e32 v87, 0x3e9e377a, v123
	;; [unrolled: 1-line block ×5, first 2 shown]
	v_add_co_ci_u32_e32 v112, vcc_lo, 0, v49, vcc_lo
	v_fmac_f32_e32 v53, 0x3e9e377a, v126
	v_fmac_f32_e32 v54, 0x3e9e377a, v127
	;; [unrolled: 1-line block ×4, first 2 shown]
	v_add_f32_e32 v104, v104, v119
	v_fmac_f32_e32 v55, 0x3e9e377a, v118
	v_fmac_f32_e32 v56, 0x3e9e377a, v122
	;; [unrolled: 1-line block ×8, first 2 shown]
	ds_write_b64 v89, v[87:88] offset:4000
	ds_write_b64 v89, v[59:60] offset:8000
	;; [unrolled: 1-line block ×4, first 2 shown]
	ds_write2_b64 v89, v[61:62], v[103:104] offset1:250
	ds_write_b64 v89, v[109:110] offset:14000
	ds_write_b64 v89, v[105:106] offset:6000
	;; [unrolled: 1-line block ×4, first 2 shown]
	s_waitcnt lgkmcnt(0)
	s_barrier
	buffer_gl0_inv
	s_clause 0x3
	global_load_dwordx2 v[53:54], v[57:58], off offset:1568
	global_load_dwordx2 v[61:62], v[107:108], off offset:1472
	global_load_dwordx2 v[87:88], v[111:112], off offset:1424
	global_load_dwordx2 v[55:56], v[99:100], off offset:2000
	v_add_co_u32 v50, vcc_lo, 0x6800, v48
	v_add_co_ci_u32_e32 v51, vcc_lo, 0, v49, vcc_lo
	v_add_co_u32 v57, vcc_lo, 0x7000, v48
	v_add_co_ci_u32_e32 v58, vcc_lo, 0, v49, vcc_lo
	;; [unrolled: 2-line block ×4, first 2 shown]
	s_clause 0x1
	global_load_dwordx2 v[103:104], v[50:51], off offset:1376
	global_load_dwordx2 v[105:106], v[57:58], off offset:1328
	v_add_co_u32 v50, vcc_lo, 0x8800, v48
	v_add_co_ci_u32_e32 v51, vcc_lo, 0, v49, vcc_lo
	v_add_co_u32 v48, vcc_lo, 0x9000, v48
	v_add_co_ci_u32_e32 v49, vcc_lo, 0, v49, vcc_lo
	s_clause 0x3
	global_load_dwordx2 v[107:108], v[59:60], off offset:1280
	global_load_dwordx2 v[109:110], v[99:100], off offset:1232
	global_load_dwordx2 v[111:112], v[50:51], off offset:1184
	global_load_dwordx2 v[113:114], v[48:49], off offset:1136
	ds_read2_b64 v[48:51], v89 offset1:250
	s_waitcnt vmcnt(9) lgkmcnt(0)
	v_mul_f32_e32 v58, v49, v54
	v_mul_f32_e32 v57, v48, v54
	s_waitcnt vmcnt(6)
	v_mul_f32_e32 v59, v51, v56
	v_mul_f32_e32 v54, v50, v56
	v_fma_f32 v56, v48, v53, -v58
	v_fmac_f32_e32 v57, v49, v53
	v_fma_f32 v53, v50, v55, -v59
	v_fmac_f32_e32 v54, v51, v55
	ds_write2_b64 v89, v[56:57], v[53:54] offset1:250
	ds_read2_b64 v[48:51], v93 offset0:4 offset1:254
	ds_read2_b64 v[53:56], v94 offset1:250
	ds_read2_b64 v[57:60], v91 offset0:4 offset1:254
	ds_read2_b64 v[99:102], v90 offset1:250
	s_waitcnt lgkmcnt(3)
	v_mul_f32_e32 v63, v48, v62
	v_mul_f32_e32 v115, v49, v62
	;; [unrolled: 1-line block ×4, first 2 shown]
	s_waitcnt vmcnt(5) lgkmcnt(2)
	v_mul_f32_e32 v88, v53, v104
	v_fmac_f32_e32 v63, v49, v61
	s_waitcnt vmcnt(4)
	v_mul_f32_e32 v49, v55, v106
	v_mul_f32_e32 v118, v54, v104
	v_fma_f32 v62, v48, v61, -v115
	v_mul_f32_e32 v48, v56, v106
	v_fma_f32 v115, v50, v87, -v117
	s_waitcnt vmcnt(3) lgkmcnt(1)
	v_mul_f32_e32 v50, v58, v108
	v_fmac_f32_e32 v116, v51, v87
	v_mul_f32_e32 v51, v57, v108
	s_waitcnt vmcnt(2)
	v_mul_f32_e32 v61, v60, v110
	v_mul_f32_e32 v104, v59, v110
	s_waitcnt vmcnt(1) lgkmcnt(0)
	v_mul_f32_e32 v106, v100, v112
	v_fmac_f32_e32 v88, v54, v103
	v_mul_f32_e32 v54, v99, v112
	s_waitcnt vmcnt(0)
	v_mul_f32_e32 v108, v102, v114
	v_fmac_f32_e32 v49, v56, v105
	v_mul_f32_e32 v56, v101, v114
	v_fma_f32 v87, v53, v103, -v118
	v_fma_f32 v48, v55, v105, -v48
	;; [unrolled: 1-line block ×3, first 2 shown]
	v_fmac_f32_e32 v51, v58, v107
	v_fma_f32 v103, v59, v109, -v61
	v_fmac_f32_e32 v104, v60, v109
	v_fma_f32 v53, v99, v111, -v106
	;; [unrolled: 2-line block ×3, first 2 shown]
	v_fmac_f32_e32 v56, v102, v113
	ds_write2_b64 v93, v[62:63], v[115:116] offset0:4 offset1:254
	ds_write2_b64 v94, v[87:88], v[48:49] offset1:250
	ds_write2_b64 v91, v[50:51], v[103:104] offset0:4 offset1:254
	ds_write2_b64 v90, v[53:54], v[55:56] offset1:250
	s_waitcnt lgkmcnt(0)
	s_barrier
	buffer_gl0_inv
	ds_read2_b64 v[48:51], v89 offset1:250
	ds_read2_b64 v[53:56], v93 offset0:4 offset1:254
	ds_read2_b64 v[57:60], v94 offset1:250
	ds_read2_b64 v[99:102], v91 offset0:4 offset1:254
	ds_read2_b64 v[103:106], v90 offset1:250
	s_waitcnt lgkmcnt(0)
	s_barrier
	buffer_gl0_inv
	v_add_f32_e32 v87, v51, v56
	v_sub_f32_e32 v108, v53, v57
	v_sub_f32_e32 v115, v60, v102
	v_add_f32_e32 v118, v60, v102
	v_sub_f32_e32 v120, v56, v60
	v_sub_f32_e32 v121, v60, v56
	v_add_f32_e32 v60, v87, v60
	v_sub_f32_e32 v87, v103, v99
	v_add_f32_e32 v62, v49, v54
	v_sub_f32_e32 v112, v54, v58
	v_sub_f32_e32 v107, v58, v100
	v_add_f32_e32 v110, v58, v100
	v_add_f32_e32 v87, v108, v87
	v_sub_f32_e32 v108, v104, v100
	v_sub_f32_e32 v113, v58, v54
	v_add_f32_e32 v58, v62, v58
	v_sub_f32_e32 v62, v56, v106
	v_add_f32_e32 v56, v56, v106
	;; [unrolled: 2-line block ×5, first 2 shown]
	v_fma_f32 v118, -0.5, v118, v51
	v_fmac_f32_e32 v51, -0.5, v56
	v_sub_f32_e32 v56, v99, v103
	v_add_f32_e32 v112, v116, v112
	v_sub_f32_e32 v116, v106, v102
	v_sub_f32_e32 v117, v59, v55
	;; [unrolled: 1-line block ×4, first 2 shown]
	v_add_f32_e32 v59, v63, v59
	v_add_f32_e32 v54, v54, v104
	;; [unrolled: 1-line block ×3, first 2 shown]
	v_sub_f32_e32 v55, v55, v105
	v_add_f32_e32 v109, v109, v56
	v_sub_f32_e32 v56, v101, v105
	v_fma_f32 v114, -0.5, v114, v50
	v_add_f32_e32 v61, v48, v53
	v_add_f32_e32 v88, v57, v99
	v_add_f32_e32 v116, v120, v116
	v_sub_f32_e32 v120, v102, v106
	v_sub_f32_e32 v111, v57, v99
	v_fma_f32 v110, -0.5, v110, v49
	v_fma_f32 v123, -0.5, v54, v49
	;; [unrolled: 1-line block ×3, first 2 shown]
	v_add_f32_e32 v63, v117, v56
	v_add_f32_e32 v49, v58, v100
	;; [unrolled: 1-line block ×3, first 2 shown]
	v_fmamk_f32 v58, v55, 0x3f737871, v118
	v_fmamk_f32 v59, v62, 0xbf737871, v114
	v_add_f32_e32 v57, v61, v57
	v_add_f32_e32 v61, v53, v103
	;; [unrolled: 1-line block ×3, first 2 shown]
	v_sub_f32_e32 v121, v100, v104
	v_fma_f32 v88, -0.5, v88, v48
	v_fmamk_f32 v100, v119, 0xbf737871, v51
	v_fmac_f32_e32 v51, 0x3f737871, v119
	v_fmac_f32_e32 v118, 0xbf737871, v55
	v_sub_f32_e32 v53, v53, v103
	v_add_f32_e32 v56, v56, v105
	v_fmamk_f32 v105, v111, 0xbf737871, v123
	v_fmac_f32_e32 v123, 0x3f737871, v111
	v_fmac_f32_e32 v58, 0x3f167918, v119
	;; [unrolled: 1-line block ×3, first 2 shown]
	v_fma_f32 v61, -0.5, v61, v48
	v_add_f32_e32 v48, v57, v99
	v_add_f32_e32 v57, v60, v102
	v_fmamk_f32 v60, v122, 0xbf737871, v88
	v_fmamk_f32 v101, v115, 0x3f737871, v50
	v_fmac_f32_e32 v50, 0xbf737871, v115
	v_fmac_f32_e32 v88, 0x3f737871, v122
	;; [unrolled: 1-line block ×6, first 2 shown]
	v_add_f32_e32 v54, v113, v121
	v_fmamk_f32 v99, v53, 0x3f737871, v110
	v_fmac_f32_e32 v105, 0x3f167918, v53
	v_fmac_f32_e32 v123, 0xbf167918, v53
	;; [unrolled: 1-line block ×4, first 2 shown]
	v_add_f32_e32 v102, v48, v103
	v_add_f32_e32 v103, v49, v104
	v_fmamk_f32 v104, v107, 0x3f737871, v61
	v_fmac_f32_e32 v61, 0xbf737871, v107
	v_fmac_f32_e32 v60, 0xbf167918, v107
	;; [unrolled: 1-line block ×13, first 2 shown]
	v_mul_f32_e32 v53, 0xbf167918, v58
	v_mul_f32_e32 v54, 0x3f167918, v59
	v_fmac_f32_e32 v104, 0xbf167918, v122
	v_fmac_f32_e32 v61, 0x3f167918, v122
	;; [unrolled: 1-line block ×3, first 2 shown]
	v_add_f32_e32 v48, v102, v56
	v_sub_f32_e32 v55, v102, v56
	v_fmac_f32_e32 v101, 0x3e9e377a, v63
	v_fmac_f32_e32 v50, 0x3e9e377a, v63
	v_fmac_f32_e32 v88, 0x3e9e377a, v87
	v_mul_f32_e32 v62, 0xbf737871, v51
	v_mul_f32_e32 v63, 0xbe9e377a, v51
	;; [unrolled: 1-line block ×4, first 2 shown]
	v_add_f32_e32 v57, v57, v106
	v_fmac_f32_e32 v110, 0xbf167918, v111
	v_fmac_f32_e32 v114, 0x3e9e377a, v112
	v_mul_f32_e32 v106, 0xbf167918, v118
	v_mul_f32_e32 v107, 0xbf4f1bbd, v118
	v_fmac_f32_e32 v99, 0x3e9e377a, v108
	v_fmac_f32_e32 v53, 0x3f4f1bbd, v59
	;; [unrolled: 1-line block ×12, first 2 shown]
	v_add_f32_e32 v49, v103, v57
	v_add_f32_e32 v50, v60, v53
	;; [unrolled: 1-line block ×3, first 2 shown]
	v_sub_f32_e32 v56, v103, v57
	v_sub_f32_e32 v57, v60, v53
	;; [unrolled: 1-line block ×3, first 2 shown]
	v_add_f32_e32 v99, v104, v87
	v_add_f32_e32 v100, v105, v102
	v_sub_f32_e32 v60, v105, v102
	v_add_f32_e32 v101, v61, v62
	v_add_f32_e32 v102, v123, v63
	;; [unrolled: 1-line block ×4, first 2 shown]
	v_sub_f32_e32 v59, v104, v87
	v_sub_f32_e32 v103, v61, v62
	;; [unrolled: 1-line block ×5, first 2 shown]
	ds_write_b128 v52, v[48:51]
	ds_write_b128 v52, v[99:102] offset:16
	ds_write_b128 v52, v[53:56] offset:32
	;; [unrolled: 1-line block ×4, first 2 shown]
	s_waitcnt lgkmcnt(0)
	s_barrier
	buffer_gl0_inv
	ds_read2_b64 v[48:51], v93 offset0:4 offset1:254
	ds_read2_b64 v[52:55], v94 offset1:250
	ds_read2_b64 v[56:59], v91 offset0:4 offset1:254
	ds_read2_b64 v[60:63], v90 offset1:250
	ds_read2_b64 v[99:102], v89 offset1:250
	v_mad_u64_u32 v[87:88], null, s2, v84, 0
	s_waitcnt lgkmcnt(0)
	s_barrier
	buffer_gl0_inv
	v_mul_f32_e32 v103, v13, v49
	v_mul_f32_e32 v13, v13, v48
	;; [unrolled: 1-line block ×16, first 2 shown]
	v_fmac_f32_e32 v103, v12, v48
	v_fma_f32 v12, v12, v49, -v13
	v_fmac_f32_e32 v104, v14, v52
	v_fma_f32 v13, v14, v53, -v15
	;; [unrolled: 2-line block ×8, first 2 shown]
	v_sub_f32_e32 v0, v103, v104
	v_sub_f32_e32 v1, v108, v107
	v_add_f32_e32 v2, v104, v107
	v_add_f32_e32 v3, v13, v10
	;; [unrolled: 1-line block ×5, first 2 shown]
	v_sub_f32_e32 v4, v12, v13
	v_sub_f32_e32 v48, v12, v15
	v_add_f32_e32 v54, v103, v108
	v_sub_f32_e32 v55, v13, v12
	v_add_f32_e32 v12, v12, v15
	v_sub_f32_e32 v5, v15, v10
	v_sub_f32_e32 v50, v103, v108
	;; [unrolled: 1-line block ×3, first 2 shown]
	v_add_f32_e32 v59, v106, v109
	v_add_f32_e32 v60, v9, v6
	;; [unrolled: 1-line block ×5, first 2 shown]
	v_sub_f32_e32 v52, v104, v107
	v_sub_f32_e32 v56, v10, v15
	;; [unrolled: 1-line block ×7, first 2 shown]
	v_add_f32_e32 v7, v7, v104
	v_add_f32_e32 v8, v11, v13
	;; [unrolled: 1-line block ×3, first 2 shown]
	v_fma_f32 v0, -0.5, v2, v99
	v_fma_f32 v1, -0.5, v3, v100
	v_add_f32_e32 v9, v114, v9
	v_sub_f32_e32 v51, v13, v10
	v_sub_f32_e32 v53, v107, v108
	v_fma_f32 v2, -0.5, v54, v99
	v_fma_f32 v3, -0.5, v12, v100
	v_sub_f32_e32 v57, v105, v106
	v_sub_f32_e32 v111, v106, v105
	v_sub_f32_e32 v105, v105, v110
	v_add_f32_e32 v120, v4, v5
	v_fma_f32 v4, -0.5, v59, v101
	v_fma_f32 v5, -0.5, v60, v102
	v_add_f32_e32 v11, v103, v106
	v_sub_f32_e32 v117, v106, v109
	v_fma_f32 v101, -0.5, v63, v101
	v_fmac_f32_e32 v102, -0.5, v113
	v_add_f32_e32 v54, v55, v56
	v_add_f32_e32 v56, v61, v62
	;; [unrolled: 1-line block ×4, first 2 shown]
	v_fmamk_f32 v8, v48, 0xbf737871, v0
	v_fmamk_f32 v9, v50, 0x3f737871, v1
	v_sub_f32_e32 v116, v6, v49
	v_add_f32_e32 v53, v14, v53
	v_add_f32_e32 v14, v7, v107
	v_fmamk_f32 v6, v51, 0x3f737871, v2
	v_fmac_f32_e32 v2, 0xbf737871, v51
	v_fmamk_f32 v7, v52, 0xbf737871, v3
	v_fmac_f32_e32 v3, 0x3f737871, v52
	v_fmac_f32_e32 v0, 0x3f737871, v48
	;; [unrolled: 1-line block ×3, first 2 shown]
	v_sub_f32_e32 v58, v110, v109
	v_add_f32_e32 v60, v11, v109
	v_fmamk_f32 v10, v119, 0xbf737871, v4
	v_fmamk_f32 v11, v105, 0x3f737871, v5
	v_sub_f32_e32 v112, v109, v110
	v_fmamk_f32 v12, v118, 0x3f737871, v101
	v_fmac_f32_e32 v101, 0xbf737871, v118
	v_fmamk_f32 v13, v117, 0xbf737871, v102
	v_fmac_f32_e32 v102, 0x3f737871, v117
	v_fmac_f32_e32 v4, 0x3f737871, v119
	;; [unrolled: 1-line block ×11, first 2 shown]
	v_add_f32_e32 v55, v57, v58
	v_fmac_f32_e32 v10, 0xbf167918, v118
	v_fmac_f32_e32 v11, 0x3f167918, v117
	v_add_f32_e32 v57, v111, v112
	v_add_f32_e32 v58, v115, v116
	v_fmac_f32_e32 v12, 0xbf167918, v119
	v_fmac_f32_e32 v101, 0x3f167918, v119
	;; [unrolled: 1-line block ×4, first 2 shown]
	v_add_f32_e32 v14, v14, v108
	v_add_f32_e32 v15, v59, v15
	v_fmac_f32_e32 v4, 0x3f167918, v118
	v_fmac_f32_e32 v5, 0xbf167918, v117
	;; [unrolled: 1-line block ×10, first 2 shown]
	v_add_f32_e32 v48, v60, v110
	v_add_f32_e32 v49, v61, v49
	v_fmac_f32_e32 v10, 0x3e9e377a, v55
	v_fmac_f32_e32 v11, 0x3e9e377a, v56
	v_fmac_f32_e32 v12, 0x3e9e377a, v57
	v_fmac_f32_e32 v101, 0x3e9e377a, v57
	v_fmac_f32_e32 v13, 0x3e9e377a, v58
	v_fmac_f32_e32 v102, 0x3e9e377a, v58
	v_fmac_f32_e32 v4, 0x3e9e377a, v55
	v_fmac_f32_e32 v5, 0x3e9e377a, v56
	ds_write2_b64 v95, v[14:15], v[8:9] offset1:10
	ds_write2_b64 v95, v[6:7], v[2:3] offset0:20 offset1:30
	ds_write_b64 v95, v[0:1] offset:320
	ds_write2_b64 v96, v[48:49], v[10:11] offset1:10
	ds_write2_b64 v96, v[12:13], v[101:102] offset0:20 offset1:30
	ds_write_b64 v96, v[4:5] offset:320
	v_mov_b32_e32 v12, v88
	s_waitcnt lgkmcnt(0)
	s_barrier
	buffer_gl0_inv
	ds_read2_b64 v[0:3], v89 offset1:250
	ds_read2_b64 v[4:7], v93 offset0:4 offset1:254
	ds_read2_b64 v[8:11], v94 offset1:250
	v_mad_u64_u32 v[54:55], null, s3, v84, v[12:13]
	ds_read2_b64 v[12:15], v91 offset0:4 offset1:254
	ds_read2_b64 v[48:51], v90 offset1:250
	v_mad_u64_u32 v[52:53], null, s0, v92, 0
	s_waitcnt lgkmcnt(0)
	s_barrier
	v_mov_b32_e32 v88, v54
	buffer_gl0_inv
	s_mov_b32 s2, 0xeb1c432d
	s_mov_b32 s3, 0x3f3a36e2
	v_mad_u64_u32 v[55:56], null, s1, v92, v[53:54]
	s_mulk_i32 s1, 0x7d0
	s_mulk_i32 s0, 0x7d0
	s_add_i32 s1, s6, s1
	v_mul_f32_e32 v53, v25, v3
	v_mul_f32_e32 v25, v25, v2
	;; [unrolled: 1-line block ×18, first 2 shown]
	v_fmac_f32_e32 v53, v24, v2
	v_fma_f32 v24, v24, v3, -v25
	v_fmac_f32_e32 v54, v26, v4
	v_fma_f32 v2, v26, v5, -v27
	;; [unrolled: 2-line block ×4, first 2 shown]
	v_fma_f32 v5, v16, v11, -v17
	v_fmac_f32_e32 v59, v18, v12
	v_fma_f32 v6, v18, v13, -v19
	v_fma_f32 v7, v28, v15, -v29
	v_fmac_f32_e32 v61, v30, v48
	v_fma_f32 v8, v30, v49, -v31
	v_fma_f32 v9, v85, v51, -v63
	v_fmac_f32_e32 v58, v16, v10
	v_fmac_f32_e32 v60, v28, v14
	;; [unrolled: 1-line block ×3, first 2 shown]
	v_add_f32_e32 v13, v4, v6
	v_add_f32_e32 v14, v2, v8
	v_sub_f32_e32 v18, v57, v54
	v_sub_f32_e32 v19, v59, v61
	v_add_f32_e32 v50, v5, v7
	v_add_f32_e32 v51, v3, v9
	;; [unrolled: 1-line block ×3, first 2 shown]
	v_sub_f32_e32 v25, v56, v58
	v_sub_f32_e32 v26, v62, v60
	v_add_f32_e32 v27, v58, v60
	v_add_f32_e32 v28, v56, v62
	;; [unrolled: 1-line block ×3, first 2 shown]
	v_sub_f32_e32 v30, v58, v56
	v_sub_f32_e32 v56, v56, v62
	v_fma_f32 v101, -0.5, v13, v1
	v_fma_f32 v102, -0.5, v14, v1
	v_add_f32_e32 v1, v18, v19
	v_fma_f32 v18, -0.5, v50, v24
	v_add_f32_e32 v63, v24, v3
	v_sub_f32_e32 v95, v58, v60
	v_fmac_f32_e32 v24, -0.5, v51
	v_add_f32_e32 v10, v0, v54
	v_add_f32_e32 v11, v57, v59
	;; [unrolled: 1-line block ×3, first 2 shown]
	v_sub_f32_e32 v16, v54, v57
	v_sub_f32_e32 v17, v61, v59
	;; [unrolled: 1-line block ×11, first 2 shown]
	v_add_f32_e32 v13, v25, v26
	v_fma_f32 v14, -0.5, v27, v53
	v_fmamk_f32 v25, v56, 0x3f737871, v18
	v_sub_f32_e32 v85, v7, v9
	v_sub_f32_e32 v96, v5, v7
	v_fmac_f32_e32 v53, -0.5, v28
	v_fmamk_f32 v26, v95, 0xbf737871, v24
	v_fmac_f32_e32 v24, 0x3f737871, v95
	v_fmac_f32_e32 v18, 0xbf737871, v56
	v_sub_f32_e32 v86, v57, v59
	v_sub_f32_e32 v2, v2, v8
	v_fma_f32 v99, -0.5, v11, v0
	v_fma_f32 v100, -0.5, v12, v0
	v_add_f32_e32 v0, v16, v17
	v_add_f32_e32 v11, v20, v21
	;; [unrolled: 1-line block ×5, first 2 shown]
	v_fmamk_f32 v20, v54, 0x3f737871, v101
	v_fmac_f32_e32 v101, 0xbf737871, v54
	v_fmamk_f32 v22, v3, 0xbf737871, v14
	v_fmac_f32_e32 v25, 0x3f167918, v95
	v_sub_f32_e32 v31, v60, v62
	v_sub_f32_e32 v92, v4, v6
	v_add_f32_e32 v4, v15, v4
	v_add_f32_e32 v15, v29, v58
	;; [unrolled: 1-line block ×3, first 2 shown]
	v_fmamk_f32 v23, v96, 0x3f737871, v53
	v_fmac_f32_e32 v53, 0xbf737871, v96
	v_fmac_f32_e32 v26, 0x3f167918, v56
	;; [unrolled: 1-line block ×5, first 2 shown]
	v_add_f32_e32 v10, v10, v57
	v_add_f32_e32 v5, v5, v7
	v_fmamk_f32 v7, v2, 0xbf737871, v99
	v_fmac_f32_e32 v20, 0x3f167918, v86
	v_fmac_f32_e32 v101, 0xbf167918, v86
	;; [unrolled: 1-line block ×4, first 2 shown]
	v_add_f32_e32 v16, v30, v31
	v_add_f32_e32 v4, v4, v6
	v_add_f32_e32 v6, v15, v60
	v_fmamk_f32 v15, v92, 0x3f737871, v100
	v_fmac_f32_e32 v100, 0xbf737871, v92
	v_fmamk_f32 v21, v86, 0xbf737871, v102
	v_fmac_f32_e32 v102, 0x3f737871, v86
	v_fmac_f32_e32 v23, 0xbf167918, v3
	;; [unrolled: 1-line block ×8, first 2 shown]
	v_add_f32_e32 v10, v10, v59
	v_fmac_f32_e32 v7, 0xbf167918, v92
	v_add_f32_e32 v3, v5, v9
	v_fmac_f32_e32 v20, 0x3e9e377a, v11
	v_fmac_f32_e32 v101, 0x3e9e377a, v11
	;; [unrolled: 1-line block ×3, first 2 shown]
	v_mul_f32_e32 v9, 0xbf167918, v25
	v_mul_f32_e32 v11, 0x3f4f1bbd, v25
	v_fmac_f32_e32 v15, 0xbf167918, v2
	v_fmac_f32_e32 v100, 0x3f167918, v2
	;; [unrolled: 1-line block ×6, first 2 shown]
	v_mul_f32_e32 v16, 0xbf737871, v26
	v_mul_f32_e32 v17, 0xbf737871, v24
	;; [unrolled: 1-line block ×4, first 2 shown]
	v_fmac_f32_e32 v99, 0x3f167918, v92
	v_fmac_f32_e32 v14, 0x3e9e377a, v13
	v_mul_f32_e32 v19, 0xbf167918, v18
	v_mul_f32_e32 v26, 0xbf4f1bbd, v18
	v_add_f32_e32 v10, v10, v61
	v_add_f32_e32 v4, v4, v8
	v_add_f32_e32 v2, v6, v62
	v_fmac_f32_e32 v7, 0x3e9e377a, v0
	v_fmac_f32_e32 v9, 0x3f4f1bbd, v22
	;; [unrolled: 1-line block ×14, first 2 shown]
	v_add_f32_e32 v0, v10, v2
	v_add_f32_e32 v1, v4, v3
	v_sub_f32_e32 v3, v4, v3
	v_add_f32_e32 v4, v7, v9
	v_add_f32_e32 v5, v20, v11
	v_sub_f32_e32 v2, v10, v2
	;; [unrolled: 3-line block ×3, first 2 shown]
	v_add_f32_e32 v7, v21, v25
	v_add_f32_e32 v9, v102, v24
	;; [unrolled: 1-line block ×4, first 2 shown]
	v_sub_f32_e32 v11, v20, v11
	v_sub_f32_e32 v14, v15, v16
	;; [unrolled: 1-line block ×7, first 2 shown]
	ds_write2_b64 v97, v[0:1], v[4:5] offset1:50
	ds_write2_b64 v97, v[6:7], v[8:9] offset0:100 offset1:150
	ds_write2_b64 v97, v[12:13], v[2:3] offset0:200 offset1:250
	;; [unrolled: 1-line block ×4, first 2 shown]
	v_mov_b32_e32 v53, v55
	v_lshlrev_b64 v[0:1], 3, v[87:88]
	s_waitcnt lgkmcnt(0)
	s_barrier
	buffer_gl0_inv
	ds_read2_b64 v[2:5], v93 offset0:4 offset1:254
	ds_read2_b64 v[6:9], v94 offset1:250
	ds_read2_b64 v[10:13], v91 offset0:4 offset1:254
	ds_read2_b64 v[14:17], v90 offset1:250
	v_lshlrev_b64 v[18:19], 3, v[52:53]
	v_add_co_u32 v0, vcc_lo, s4, v0
	v_add_co_ci_u32_e32 v1, vcc_lo, s5, v1, vcc_lo
	v_add_co_u32 v0, vcc_lo, v0, v18
	v_add_co_ci_u32_e32 v1, vcc_lo, v1, v19, vcc_lo
	ds_read2_b64 v[18:21], v89 offset1:250
	s_waitcnt lgkmcnt(4)
	v_mul_f32_e32 v22, v41, v3
	v_mul_f32_e32 v23, v41, v2
	s_waitcnt lgkmcnt(3)
	v_mul_f32_e32 v24, v43, v7
	v_mul_f32_e32 v25, v43, v6
	;; [unrolled: 3-line block ×4, first 2 shown]
	v_mul_f32_e32 v30, v33, v5
	v_mul_f32_e32 v31, v33, v4
	;; [unrolled: 1-line block ×8, first 2 shown]
	v_fmac_f32_e32 v22, v40, v2
	v_fma_f32 v2, v40, v3, -v23
	v_fmac_f32_e32 v24, v42, v6
	v_fma_f32 v3, v42, v7, -v25
	;; [unrolled: 2-line block ×8, first 2 shown]
	v_add_f32_e32 v6, v24, v26
	v_sub_f32_e32 v8, v22, v24
	v_sub_f32_e32 v9, v28, v26
	s_waitcnt lgkmcnt(0)
	v_add_f32_e32 v15, v19, v2
	v_add_f32_e32 v16, v3, v11
	;; [unrolled: 1-line block ×5, first 2 shown]
	v_sub_f32_e32 v17, v2, v23
	v_sub_f32_e32 v27, v3, v11
	;; [unrolled: 1-line block ×7, first 2 shown]
	v_add_f32_e32 v37, v20, v30
	v_add_f32_e32 v38, v33, v41
	;; [unrolled: 1-line block ×8, first 2 shown]
	v_fma_f32 v2, -0.5, v6, v18
	v_fma_f32 v3, -0.5, v16, v19
	v_sub_f32_e32 v29, v24, v26
	v_sub_f32_e32 v39, v4, v25
	;; [unrolled: 1-line block ×4, first 2 shown]
	v_add_f32_e32 v24, v5, v24
	v_fma_f32 v4, -0.5, v10, v18
	v_fma_f32 v5, -0.5, v34, v19
	v_sub_f32_e32 v32, v23, v11
	v_sub_f32_e32 v40, v7, v13
	;; [unrolled: 1-line block ×6, first 2 shown]
	v_add_f32_e32 v57, v12, v14
	v_add_f32_e32 v12, v37, v33
	v_fma_f32 v6, -0.5, v38, v20
	v_fma_f32 v20, -0.5, v45, v20
	v_add_f32_e32 v15, v48, v7
	v_fma_f32 v7, -0.5, v49, v21
	v_fmac_f32_e32 v21, -0.5, v53
	v_fmamk_f32 v8, v17, 0xbf737871, v2
	v_add_f32_e32 v18, v9, v11
	v_fmamk_f32 v9, v22, 0x3f737871, v3
	v_sub_f32_e32 v36, v11, v23
	v_fmamk_f32 v10, v27, 0x3f737871, v4
	v_fmamk_f32 v11, v29, 0xbf737871, v5
	v_fmac_f32_e32 v4, 0xbf737871, v27
	v_fmac_f32_e32 v5, 0x3f737871, v29
	;; [unrolled: 1-line block ×4, first 2 shown]
	v_sub_f32_e32 v44, v43, v41
	v_sub_f32_e32 v47, v41, v43
	v_sub_f32_e32 v52, v25, v13
	v_sub_f32_e32 v55, v13, v25
	v_add_f32_e32 v31, v31, v32
	v_add_f32_e32 v16, v24, v26
	;; [unrolled: 1-line block ×3, first 2 shown]
	v_fmamk_f32 v12, v39, 0xbf737871, v6
	v_fmac_f32_e32 v6, 0x3f737871, v39
	v_fmamk_f32 v14, v40, 0x3f737871, v20
	v_fmac_f32_e32 v20, 0xbf737871, v40
	v_add_f32_e32 v24, v15, v13
	v_fmamk_f32 v13, v30, 0x3f737871, v7
	v_fmac_f32_e32 v7, 0xbf737871, v30
	v_fmamk_f32 v15, v50, 0xbf737871, v21
	v_fmac_f32_e32 v21, 0x3f737871, v50
	v_fmac_f32_e32 v8, 0xbf167918, v27
	;; [unrolled: 1-line block ×3, first 2 shown]
	v_add_f32_e32 v32, v35, v36
	v_fmac_f32_e32 v10, 0xbf167918, v17
	v_fmac_f32_e32 v11, 0x3f167918, v22
	;; [unrolled: 1-line block ×6, first 2 shown]
	v_add_f32_e32 v33, v42, v44
	v_add_f32_e32 v34, v46, v47
	;; [unrolled: 1-line block ×4, first 2 shown]
	v_fmac_f32_e32 v12, 0xbf167918, v40
	v_fmac_f32_e32 v6, 0x3f167918, v40
	;; [unrolled: 1-line block ×16, first 2 shown]
	v_add_f32_e32 v16, v16, v28
	v_add_f32_e32 v17, v18, v23
	;; [unrolled: 1-line block ×4, first 2 shown]
	v_fmac_f32_e32 v12, 0x3e9e377a, v33
	v_fmac_f32_e32 v6, 0x3e9e377a, v33
	;; [unrolled: 1-line block ×8, first 2 shown]
	ds_write_b64 v89, v[8:9] offset:4000
	ds_write_b64 v89, v[10:11] offset:8000
	;; [unrolled: 1-line block ×4, first 2 shown]
	ds_write2_b64 v89, v[16:17], v[18:19] offset1:250
	ds_write_b64 v89, v[12:13] offset:6000
	ds_write_b64 v89, v[14:15] offset:10000
	;; [unrolled: 1-line block ×4, first 2 shown]
	s_waitcnt lgkmcnt(0)
	s_barrier
	buffer_gl0_inv
	ds_read2_b64 v[2:5], v89 offset1:250
	ds_read2_b64 v[6:9], v93 offset0:4 offset1:254
	ds_read2_b64 v[10:13], v94 offset1:250
	ds_read2_b64 v[14:17], v91 offset0:4 offset1:254
	ds_read2_b64 v[18:21], v90 offset1:250
	v_add_co_u32 v22, vcc_lo, v0, s0
	v_add_co_ci_u32_e32 v23, vcc_lo, s1, v1, vcc_lo
	v_add_co_u32 v24, vcc_lo, v22, s0
	v_add_co_ci_u32_e32 v25, vcc_lo, s1, v23, vcc_lo
	;; [unrolled: 2-line block ×3, first 2 shown]
	v_add_co_u32 v28, vcc_lo, v26, s0
	s_waitcnt lgkmcnt(4)
	v_mul_f32_e32 v30, v67, v3
	v_mul_f32_e32 v31, v67, v2
	v_mul_f32_e32 v32, v65, v5
	v_mul_f32_e32 v33, v65, v4
	s_waitcnt lgkmcnt(3)
	v_mul_f32_e32 v34, v69, v7
	v_mul_f32_e32 v35, v69, v6
	v_mul_f32_e32 v36, v75, v9
	v_mul_f32_e32 v37, v75, v8
	;; [unrolled: 5-line block ×3, first 2 shown]
	v_fmac_f32_e32 v30, v66, v2
	v_fma_f32 v31, v66, v3, -v31
	s_waitcnt lgkmcnt(1)
	v_mul_f32_e32 v42, v77, v15
	v_mul_f32_e32 v43, v77, v14
	v_fmac_f32_e32 v32, v64, v4
	v_fma_f32 v33, v64, v5, -v33
	v_mul_f32_e32 v44, v79, v17
	v_mul_f32_e32 v45, v79, v16
	v_fmac_f32_e32 v34, v68, v6
	v_fma_f32 v35, v68, v7, -v35
	s_waitcnt lgkmcnt(0)
	v_mul_f32_e32 v46, v81, v19
	v_mul_f32_e32 v47, v81, v18
	v_fmac_f32_e32 v36, v74, v8
	v_fma_f32 v37, v74, v9, -v37
	v_mul_f32_e32 v48, v83, v21
	v_mul_f32_e32 v49, v83, v20
	v_fmac_f32_e32 v38, v72, v10
	v_fma_f32 v39, v72, v11, -v39
	v_fmac_f32_e32 v40, v70, v12
	v_fma_f32 v41, v70, v13, -v41
	v_cvt_f64_f32_e32 v[2:3], v30
	v_cvt_f64_f32_e32 v[4:5], v31
	v_fmac_f32_e32 v42, v76, v14
	v_fma_f32 v43, v76, v15, -v43
	v_cvt_f64_f32_e32 v[6:7], v32
	v_cvt_f64_f32_e32 v[8:9], v33
	v_fmac_f32_e32 v44, v78, v16
	v_fma_f32 v45, v78, v17, -v45
	v_cvt_f64_f32_e32 v[10:11], v34
	v_cvt_f64_f32_e32 v[12:13], v35
	v_fmac_f32_e32 v46, v80, v18
	v_fma_f32 v47, v80, v19, -v47
	v_cvt_f64_f32_e32 v[14:15], v36
	v_cvt_f64_f32_e32 v[16:17], v37
	v_fmac_f32_e32 v48, v82, v20
	v_fma_f32 v49, v82, v21, -v49
	v_cvt_f64_f32_e32 v[18:19], v38
	v_cvt_f64_f32_e32 v[20:21], v39
	v_cvt_f64_f32_e32 v[30:31], v40
	v_cvt_f64_f32_e32 v[32:33], v41
	;; [unrolled: 1-line block ×10, first 2 shown]
	v_mul_f64 v[2:3], v[2:3], s[2:3]
	v_mul_f64 v[4:5], v[4:5], s[2:3]
	;; [unrolled: 1-line block ×8, first 2 shown]
	v_add_co_ci_u32_e32 v29, vcc_lo, s1, v27, vcc_lo
	v_mul_f64 v[18:19], v[18:19], s[2:3]
	v_mul_f64 v[20:21], v[20:21], s[2:3]
	;; [unrolled: 1-line block ×12, first 2 shown]
	v_add_co_u32 v50, vcc_lo, v28, s0
	v_cvt_f32_f64_e32 v2, v[2:3]
	v_cvt_f32_f64_e32 v3, v[4:5]
	v_cvt_f32_f64_e32 v4, v[6:7]
	v_cvt_f32_f64_e32 v5, v[8:9]
	v_add_co_ci_u32_e32 v51, vcc_lo, s1, v29, vcc_lo
	v_cvt_f32_f64_e32 v6, v[10:11]
	v_cvt_f32_f64_e32 v7, v[12:13]
	;; [unrolled: 1-line block ×6, first 2 shown]
	v_add_co_u32 v52, vcc_lo, v50, s0
	v_cvt_f32_f64_e32 v12, v[30:31]
	v_cvt_f32_f64_e32 v13, v[32:33]
	;; [unrolled: 1-line block ×4, first 2 shown]
	v_add_co_ci_u32_e32 v53, vcc_lo, s1, v51, vcc_lo
	v_cvt_f32_f64_e32 v16, v[38:39]
	v_cvt_f32_f64_e32 v17, v[40:41]
	;; [unrolled: 1-line block ×6, first 2 shown]
	v_add_co_u32 v30, vcc_lo, v52, s0
	v_add_co_ci_u32_e32 v31, vcc_lo, s1, v53, vcc_lo
	v_add_co_u32 v32, vcc_lo, v30, s0
	v_add_co_ci_u32_e32 v33, vcc_lo, s1, v31, vcc_lo
	;; [unrolled: 2-line block ×3, first 2 shown]
	global_store_dwordx2 v[0:1], v[2:3], off
	global_store_dwordx2 v[22:23], v[4:5], off
	;; [unrolled: 1-line block ×10, first 2 shown]
.LBB0_2:
	s_endpgm
	.section	.rodata,"a",@progbits
	.p2align	6, 0x0
	.amdhsa_kernel bluestein_single_back_len2500_dim1_sp_op_CI_CI
		.amdhsa_group_segment_fixed_size 20000
		.amdhsa_private_segment_fixed_size 0
		.amdhsa_kernarg_size 104
		.amdhsa_user_sgpr_count 6
		.amdhsa_user_sgpr_private_segment_buffer 1
		.amdhsa_user_sgpr_dispatch_ptr 0
		.amdhsa_user_sgpr_queue_ptr 0
		.amdhsa_user_sgpr_kernarg_segment_ptr 1
		.amdhsa_user_sgpr_dispatch_id 0
		.amdhsa_user_sgpr_flat_scratch_init 0
		.amdhsa_user_sgpr_private_segment_size 0
		.amdhsa_wavefront_size32 1
		.amdhsa_uses_dynamic_stack 0
		.amdhsa_system_sgpr_private_segment_wavefront_offset 0
		.amdhsa_system_sgpr_workgroup_id_x 1
		.amdhsa_system_sgpr_workgroup_id_y 0
		.amdhsa_system_sgpr_workgroup_id_z 0
		.amdhsa_system_sgpr_workgroup_info 0
		.amdhsa_system_vgpr_workitem_id 0
		.amdhsa_next_free_vgpr 128
		.amdhsa_next_free_sgpr 20
		.amdhsa_reserve_vcc 1
		.amdhsa_reserve_flat_scratch 0
		.amdhsa_float_round_mode_32 0
		.amdhsa_float_round_mode_16_64 0
		.amdhsa_float_denorm_mode_32 3
		.amdhsa_float_denorm_mode_16_64 3
		.amdhsa_dx10_clamp 1
		.amdhsa_ieee_mode 1
		.amdhsa_fp16_overflow 0
		.amdhsa_workgroup_processor_mode 1
		.amdhsa_memory_ordered 1
		.amdhsa_forward_progress 0
		.amdhsa_shared_vgpr_count 0
		.amdhsa_exception_fp_ieee_invalid_op 0
		.amdhsa_exception_fp_denorm_src 0
		.amdhsa_exception_fp_ieee_div_zero 0
		.amdhsa_exception_fp_ieee_overflow 0
		.amdhsa_exception_fp_ieee_underflow 0
		.amdhsa_exception_fp_ieee_inexact 0
		.amdhsa_exception_int_div_zero 0
	.end_amdhsa_kernel
	.text
.Lfunc_end0:
	.size	bluestein_single_back_len2500_dim1_sp_op_CI_CI, .Lfunc_end0-bluestein_single_back_len2500_dim1_sp_op_CI_CI
                                        ; -- End function
	.section	.AMDGPU.csdata,"",@progbits
; Kernel info:
; codeLenInByte = 11108
; NumSgprs: 22
; NumVgprs: 128
; ScratchSize: 0
; MemoryBound: 0
; FloatMode: 240
; IeeeMode: 1
; LDSByteSize: 20000 bytes/workgroup (compile time only)
; SGPRBlocks: 2
; VGPRBlocks: 15
; NumSGPRsForWavesPerEU: 22
; NumVGPRsForWavesPerEU: 128
; Occupancy: 8
; WaveLimiterHint : 1
; COMPUTE_PGM_RSRC2:SCRATCH_EN: 0
; COMPUTE_PGM_RSRC2:USER_SGPR: 6
; COMPUTE_PGM_RSRC2:TRAP_HANDLER: 0
; COMPUTE_PGM_RSRC2:TGID_X_EN: 1
; COMPUTE_PGM_RSRC2:TGID_Y_EN: 0
; COMPUTE_PGM_RSRC2:TGID_Z_EN: 0
; COMPUTE_PGM_RSRC2:TIDIG_COMP_CNT: 0
	.text
	.p2alignl 6, 3214868480
	.fill 48, 4, 3214868480
	.type	__hip_cuid_36759c174d4e84b8,@object ; @__hip_cuid_36759c174d4e84b8
	.section	.bss,"aw",@nobits
	.globl	__hip_cuid_36759c174d4e84b8
__hip_cuid_36759c174d4e84b8:
	.byte	0                               ; 0x0
	.size	__hip_cuid_36759c174d4e84b8, 1

	.ident	"AMD clang version 19.0.0git (https://github.com/RadeonOpenCompute/llvm-project roc-6.4.0 25133 c7fe45cf4b819c5991fe208aaa96edf142730f1d)"
	.section	".note.GNU-stack","",@progbits
	.addrsig
	.addrsig_sym __hip_cuid_36759c174d4e84b8
	.amdgpu_metadata
---
amdhsa.kernels:
  - .args:
      - .actual_access:  read_only
        .address_space:  global
        .offset:         0
        .size:           8
        .value_kind:     global_buffer
      - .actual_access:  read_only
        .address_space:  global
        .offset:         8
        .size:           8
        .value_kind:     global_buffer
      - .actual_access:  read_only
        .address_space:  global
        .offset:         16
        .size:           8
        .value_kind:     global_buffer
      - .actual_access:  read_only
        .address_space:  global
        .offset:         24
        .size:           8
        .value_kind:     global_buffer
      - .actual_access:  read_only
        .address_space:  global
        .offset:         32
        .size:           8
        .value_kind:     global_buffer
      - .offset:         40
        .size:           8
        .value_kind:     by_value
      - .address_space:  global
        .offset:         48
        .size:           8
        .value_kind:     global_buffer
      - .address_space:  global
        .offset:         56
        .size:           8
        .value_kind:     global_buffer
      - .address_space:  global
        .offset:         64
        .size:           8
        .value_kind:     global_buffer
      - .address_space:  global
        .offset:         72
        .size:           8
        .value_kind:     global_buffer
      - .offset:         80
        .size:           4
        .value_kind:     by_value
      - .address_space:  global
        .offset:         88
        .size:           8
        .value_kind:     global_buffer
      - .address_space:  global
        .offset:         96
        .size:           8
        .value_kind:     global_buffer
    .group_segment_fixed_size: 20000
    .kernarg_segment_align: 8
    .kernarg_segment_size: 104
    .language:       OpenCL C
    .language_version:
      - 2
      - 0
    .max_flat_workgroup_size: 250
    .name:           bluestein_single_back_len2500_dim1_sp_op_CI_CI
    .private_segment_fixed_size: 0
    .sgpr_count:     22
    .sgpr_spill_count: 0
    .symbol:         bluestein_single_back_len2500_dim1_sp_op_CI_CI.kd
    .uniform_work_group_size: 1
    .uses_dynamic_stack: false
    .vgpr_count:     128
    .vgpr_spill_count: 0
    .wavefront_size: 32
    .workgroup_processor_mode: 1
amdhsa.target:   amdgcn-amd-amdhsa--gfx1030
amdhsa.version:
  - 1
  - 2
...

	.end_amdgpu_metadata
